;; amdgpu-corpus repo=ROCm/rocFFT kind=compiled arch=gfx1030 opt=O3
	.text
	.amdgcn_target "amdgcn-amd-amdhsa--gfx1030"
	.amdhsa_code_object_version 6
	.protected	fft_rtc_fwd_len924_factors_2_2_3_7_11_wgs_44_tpt_44_halfLds_sp_ip_CI_unitstride_sbrr_dirReg ; -- Begin function fft_rtc_fwd_len924_factors_2_2_3_7_11_wgs_44_tpt_44_halfLds_sp_ip_CI_unitstride_sbrr_dirReg
	.globl	fft_rtc_fwd_len924_factors_2_2_3_7_11_wgs_44_tpt_44_halfLds_sp_ip_CI_unitstride_sbrr_dirReg
	.p2align	8
	.type	fft_rtc_fwd_len924_factors_2_2_3_7_11_wgs_44_tpt_44_halfLds_sp_ip_CI_unitstride_sbrr_dirReg,@function
fft_rtc_fwd_len924_factors_2_2_3_7_11_wgs_44_tpt_44_halfLds_sp_ip_CI_unitstride_sbrr_dirReg: ; @fft_rtc_fwd_len924_factors_2_2_3_7_11_wgs_44_tpt_44_halfLds_sp_ip_CI_unitstride_sbrr_dirReg
; %bb.0:
	s_clause 0x2
	s_load_dwordx4 s[8:11], s[4:5], 0x0
	s_load_dwordx2 s[2:3], s[4:5], 0x50
	s_load_dwordx2 s[12:13], s[4:5], 0x18
	v_mul_u32_u24_e32 v1, 0x5d2, v0
	v_mov_b32_e32 v3, 0
	v_add_nc_u32_sdwa v5, s6, v1 dst_sel:DWORD dst_unused:UNUSED_PAD src0_sel:DWORD src1_sel:WORD_1
	v_mov_b32_e32 v1, 0
	v_mov_b32_e32 v6, v3
	v_mov_b32_e32 v2, 0
	s_waitcnt lgkmcnt(0)
	v_cmp_lt_u64_e64 s0, s[10:11], 2
	s_and_b32 vcc_lo, exec_lo, s0
	s_cbranch_vccnz .LBB0_8
; %bb.1:
	s_load_dwordx2 s[0:1], s[4:5], 0x10
	v_mov_b32_e32 v1, 0
	s_add_u32 s6, s12, 8
	v_mov_b32_e32 v2, 0
	s_addc_u32 s7, s13, 0
	s_mov_b64 s[16:17], 1
	s_waitcnt lgkmcnt(0)
	s_add_u32 s14, s0, 8
	s_addc_u32 s15, s1, 0
.LBB0_2:                                ; =>This Inner Loop Header: Depth=1
	s_load_dwordx2 s[18:19], s[14:15], 0x0
                                        ; implicit-def: $vgpr7_vgpr8
	s_mov_b32 s0, exec_lo
	s_waitcnt lgkmcnt(0)
	v_or_b32_e32 v4, s19, v6
	v_cmpx_ne_u64_e32 0, v[3:4]
	s_xor_b32 s1, exec_lo, s0
	s_cbranch_execz .LBB0_4
; %bb.3:                                ;   in Loop: Header=BB0_2 Depth=1
	v_cvt_f32_u32_e32 v4, s18
	v_cvt_f32_u32_e32 v7, s19
	s_sub_u32 s0, 0, s18
	s_subb_u32 s20, 0, s19
	v_fmac_f32_e32 v4, 0x4f800000, v7
	v_rcp_f32_e32 v4, v4
	v_mul_f32_e32 v4, 0x5f7ffffc, v4
	v_mul_f32_e32 v7, 0x2f800000, v4
	v_trunc_f32_e32 v7, v7
	v_fmac_f32_e32 v4, 0xcf800000, v7
	v_cvt_u32_f32_e32 v7, v7
	v_cvt_u32_f32_e32 v4, v4
	v_mul_lo_u32 v8, s0, v7
	v_mul_hi_u32 v9, s0, v4
	v_mul_lo_u32 v10, s20, v4
	v_add_nc_u32_e32 v8, v9, v8
	v_mul_lo_u32 v9, s0, v4
	v_add_nc_u32_e32 v8, v8, v10
	v_mul_hi_u32 v10, v4, v9
	v_mul_lo_u32 v11, v4, v8
	v_mul_hi_u32 v12, v4, v8
	v_mul_hi_u32 v13, v7, v9
	v_mul_lo_u32 v9, v7, v9
	v_mul_hi_u32 v14, v7, v8
	v_mul_lo_u32 v8, v7, v8
	v_add_co_u32 v10, vcc_lo, v10, v11
	v_add_co_ci_u32_e32 v11, vcc_lo, 0, v12, vcc_lo
	v_add_co_u32 v9, vcc_lo, v10, v9
	v_add_co_ci_u32_e32 v9, vcc_lo, v11, v13, vcc_lo
	v_add_co_ci_u32_e32 v10, vcc_lo, 0, v14, vcc_lo
	v_add_co_u32 v8, vcc_lo, v9, v8
	v_add_co_ci_u32_e32 v9, vcc_lo, 0, v10, vcc_lo
	v_add_co_u32 v4, vcc_lo, v4, v8
	v_add_co_ci_u32_e32 v7, vcc_lo, v7, v9, vcc_lo
	v_mul_hi_u32 v8, s0, v4
	v_mul_lo_u32 v10, s20, v4
	v_mul_lo_u32 v9, s0, v7
	v_add_nc_u32_e32 v8, v8, v9
	v_mul_lo_u32 v9, s0, v4
	v_add_nc_u32_e32 v8, v8, v10
	v_mul_hi_u32 v10, v4, v9
	v_mul_lo_u32 v11, v4, v8
	v_mul_hi_u32 v12, v4, v8
	v_mul_hi_u32 v13, v7, v9
	v_mul_lo_u32 v9, v7, v9
	v_mul_hi_u32 v14, v7, v8
	v_mul_lo_u32 v8, v7, v8
	v_add_co_u32 v10, vcc_lo, v10, v11
	v_add_co_ci_u32_e32 v11, vcc_lo, 0, v12, vcc_lo
	v_add_co_u32 v9, vcc_lo, v10, v9
	v_add_co_ci_u32_e32 v9, vcc_lo, v11, v13, vcc_lo
	v_add_co_ci_u32_e32 v10, vcc_lo, 0, v14, vcc_lo
	v_add_co_u32 v8, vcc_lo, v9, v8
	v_add_co_ci_u32_e32 v9, vcc_lo, 0, v10, vcc_lo
	v_add_co_u32 v4, vcc_lo, v4, v8
	v_add_co_ci_u32_e32 v11, vcc_lo, v7, v9, vcc_lo
	v_mul_hi_u32 v13, v5, v4
	v_mad_u64_u32 v[9:10], null, v6, v4, 0
	v_mad_u64_u32 v[7:8], null, v5, v11, 0
	;; [unrolled: 1-line block ×3, first 2 shown]
	v_add_co_u32 v4, vcc_lo, v13, v7
	v_add_co_ci_u32_e32 v7, vcc_lo, 0, v8, vcc_lo
	v_add_co_u32 v4, vcc_lo, v4, v9
	v_add_co_ci_u32_e32 v4, vcc_lo, v7, v10, vcc_lo
	v_add_co_ci_u32_e32 v7, vcc_lo, 0, v12, vcc_lo
	v_add_co_u32 v4, vcc_lo, v4, v11
	v_add_co_ci_u32_e32 v9, vcc_lo, 0, v7, vcc_lo
	v_mul_lo_u32 v10, s19, v4
	v_mad_u64_u32 v[7:8], null, s18, v4, 0
	v_mul_lo_u32 v11, s18, v9
	v_sub_co_u32 v7, vcc_lo, v5, v7
	v_add3_u32 v8, v8, v11, v10
	v_sub_nc_u32_e32 v10, v6, v8
	v_subrev_co_ci_u32_e64 v10, s0, s19, v10, vcc_lo
	v_add_co_u32 v11, s0, v4, 2
	v_add_co_ci_u32_e64 v12, s0, 0, v9, s0
	v_sub_co_u32 v13, s0, v7, s18
	v_sub_co_ci_u32_e32 v8, vcc_lo, v6, v8, vcc_lo
	v_subrev_co_ci_u32_e64 v10, s0, 0, v10, s0
	v_cmp_le_u32_e32 vcc_lo, s18, v13
	v_cmp_eq_u32_e64 s0, s19, v8
	v_cndmask_b32_e64 v13, 0, -1, vcc_lo
	v_cmp_le_u32_e32 vcc_lo, s19, v10
	v_cndmask_b32_e64 v14, 0, -1, vcc_lo
	v_cmp_le_u32_e32 vcc_lo, s18, v7
	;; [unrolled: 2-line block ×3, first 2 shown]
	v_cndmask_b32_e64 v15, 0, -1, vcc_lo
	v_cmp_eq_u32_e32 vcc_lo, s19, v10
	v_cndmask_b32_e64 v7, v15, v7, s0
	v_cndmask_b32_e32 v10, v14, v13, vcc_lo
	v_add_co_u32 v13, vcc_lo, v4, 1
	v_add_co_ci_u32_e32 v14, vcc_lo, 0, v9, vcc_lo
	v_cmp_ne_u32_e32 vcc_lo, 0, v10
	v_cndmask_b32_e32 v8, v14, v12, vcc_lo
	v_cndmask_b32_e32 v10, v13, v11, vcc_lo
	v_cmp_ne_u32_e32 vcc_lo, 0, v7
	v_cndmask_b32_e32 v8, v9, v8, vcc_lo
	v_cndmask_b32_e32 v7, v4, v10, vcc_lo
.LBB0_4:                                ;   in Loop: Header=BB0_2 Depth=1
	s_andn2_saveexec_b32 s0, s1
	s_cbranch_execz .LBB0_6
; %bb.5:                                ;   in Loop: Header=BB0_2 Depth=1
	v_cvt_f32_u32_e32 v4, s18
	s_sub_i32 s1, 0, s18
	v_rcp_iflag_f32_e32 v4, v4
	v_mul_f32_e32 v4, 0x4f7ffffe, v4
	v_cvt_u32_f32_e32 v4, v4
	v_mul_lo_u32 v7, s1, v4
	v_mul_hi_u32 v7, v4, v7
	v_add_nc_u32_e32 v4, v4, v7
	v_mul_hi_u32 v4, v5, v4
	v_mul_lo_u32 v7, v4, s18
	v_add_nc_u32_e32 v8, 1, v4
	v_sub_nc_u32_e32 v7, v5, v7
	v_subrev_nc_u32_e32 v9, s18, v7
	v_cmp_le_u32_e32 vcc_lo, s18, v7
	v_cndmask_b32_e32 v7, v7, v9, vcc_lo
	v_cndmask_b32_e32 v4, v4, v8, vcc_lo
	v_cmp_le_u32_e32 vcc_lo, s18, v7
	v_add_nc_u32_e32 v8, 1, v4
	v_cndmask_b32_e32 v7, v4, v8, vcc_lo
	v_mov_b32_e32 v8, v3
.LBB0_6:                                ;   in Loop: Header=BB0_2 Depth=1
	s_or_b32 exec_lo, exec_lo, s0
	s_load_dwordx2 s[0:1], s[6:7], 0x0
	v_mul_lo_u32 v4, v8, s18
	v_mul_lo_u32 v11, v7, s19
	v_mad_u64_u32 v[9:10], null, v7, s18, 0
	s_add_u32 s16, s16, 1
	s_addc_u32 s17, s17, 0
	s_add_u32 s6, s6, 8
	s_addc_u32 s7, s7, 0
	;; [unrolled: 2-line block ×3, first 2 shown]
	v_add3_u32 v4, v10, v11, v4
	v_sub_co_u32 v5, vcc_lo, v5, v9
	v_sub_co_ci_u32_e32 v4, vcc_lo, v6, v4, vcc_lo
	s_waitcnt lgkmcnt(0)
	v_mul_lo_u32 v6, s1, v5
	v_mul_lo_u32 v4, s0, v4
	v_mad_u64_u32 v[1:2], null, s0, v5, v[1:2]
	v_cmp_ge_u64_e64 s0, s[16:17], s[10:11]
	s_and_b32 vcc_lo, exec_lo, s0
	v_add3_u32 v2, v6, v2, v4
	s_cbranch_vccnz .LBB0_9
; %bb.7:                                ;   in Loop: Header=BB0_2 Depth=1
	v_mov_b32_e32 v5, v7
	v_mov_b32_e32 v6, v8
	s_branch .LBB0_2
.LBB0_8:
	v_mov_b32_e32 v8, v6
	v_mov_b32_e32 v7, v5
.LBB0_9:
	s_lshl_b64 s[0:1], s[10:11], 3
	v_mul_hi_u32 v4, 0x5d1745e, v0
	s_add_u32 s0, s12, s0
	s_addc_u32 s1, s13, s1
	v_mov_b32_e32 v21, 0
	s_load_dwordx2 s[0:1], s[0:1], 0x0
	s_load_dwordx2 s[4:5], s[4:5], 0x20
                                        ; implicit-def: $vgpr43
                                        ; implicit-def: $vgpr12
                                        ; implicit-def: $vgpr25
                                        ; implicit-def: $vgpr10
                                        ; implicit-def: $vgpr29
                                        ; implicit-def: $vgpr18
                                        ; implicit-def: $vgpr31
                                        ; implicit-def: $vgpr27
                                        ; implicit-def: $vgpr35
                                        ; implicit-def: $vgpr14
                                        ; implicit-def: $vgpr39
                                        ; implicit-def: $vgpr16
                                        ; implicit-def: $vgpr41
                                        ; implicit-def: $vgpr33
                                        ; implicit-def: $vgpr37
                                        ; implicit-def: $vgpr49
                                        ; implicit-def: $vgpr45
                                        ; implicit-def: $vgpr47
	s_waitcnt lgkmcnt(0)
	v_mul_lo_u32 v5, s0, v8
	v_mul_lo_u32 v6, s1, v7
	v_mad_u64_u32 v[2:3], null, s0, v7, v[1:2]
	v_mul_u32_u24_e32 v1, 44, v4
	v_cmp_gt_u64_e32 vcc_lo, s[4:5], v[7:8]
                                        ; implicit-def: $vgpr4
                                        ; implicit-def: $vgpr8
	v_sub_nc_u32_e32 v20, v0, v1
	v_add3_u32 v3, v6, v3, v5
	v_mov_b32_e32 v1, 0
                                        ; implicit-def: $vgpr6
	v_lshlrev_b64 v[22:23], 3, v[2:3]
	s_and_saveexec_b32 s1, vcc_lo
	s_cbranch_execz .LBB0_13
; %bb.10:
	v_mov_b32_e32 v21, 0
	v_add_co_u32 v2, s0, s2, v22
	v_add_co_ci_u32_e64 v3, s0, s3, v23, s0
	v_lshlrev_b64 v[0:1], 3, v[20:21]
	s_mov_b32 s4, exec_lo
                                        ; implicit-def: $vgpr48
	v_add_co_u32 v0, s0, v2, v0
	v_add_co_ci_u32_e64 v1, s0, v3, v1, s0
	v_add_co_u32 v49, s0, 0x800, v0
	v_add_co_ci_u32_e64 v50, s0, 0, v1, s0
	;; [unrolled: 2-line block ×3, first 2 shown]
	s_clause 0xc
	global_load_dwordx2 v[11:12], v[49:50], off offset:2000
	global_load_dwordx2 v[3:4], v[0:1], off
	global_load_dwordx2 v[5:6], v[0:1], off offset:352
	global_load_dwordx2 v[7:8], v[0:1], off offset:704
	;; [unrolled: 1-line block ×11, first 2 shown]
	v_add_co_u32 v51, s0, 0x1800, v0
	v_add_co_ci_u32_e64 v52, s0, 0, v1, s0
	s_clause 0x6
	global_load_dwordx2 v[32:33], v[49:50], off offset:768
	global_load_dwordx2 v[42:43], v[49:50], off offset:1648
	;; [unrolled: 1-line block ×7, first 2 shown]
	v_mov_b32_e32 v1, v21
	v_cmpx_gt_u32_e32 22, v20
	s_cbranch_execz .LBB0_12
; %bb.11:
	s_clause 0x1
	global_load_dwordx2 v[0:1], v[49:50], off offset:1472
	global_load_dwordx2 v[48:49], v[51:52], off offset:1072
	s_waitcnt vmcnt(1)
	v_mov_b32_e32 v21, v0
.LBB0_12:
	s_or_b32 exec_lo, exec_lo, s4
.LBB0_13:
	s_or_b32 exec_lo, exec_lo, s1
	s_waitcnt vmcnt(5)
	v_sub_f32_e32 v51, v3, v42
	v_lshl_add_u32 v0, v20, 3, 0
	v_sub_f32_e32 v53, v5, v11
	v_sub_f32_e32 v55, v7, v24
	;; [unrolled: 1-line block ×3, first 2 shown]
	v_fma_f32 v50, v3, 2.0, -v51
	v_sub_f32_e32 v3, v17, v30
	v_add_nc_u32_e32 v70, 44, v20
	v_add_nc_u32_e32 v73, 0x58, v20
	;; [unrolled: 1-line block ×3, first 2 shown]
	ds_write_b64 v0, v[50:51]
	v_sub_f32_e32 v51, v26, v34
	v_add_nc_u32_e32 v76, 0xdc, v20
	v_add_nc_u32_e32 v75, 0xb0, v20
	v_fma_f32 v52, v5, 2.0, -v53
	v_fma_f32 v54, v7, 2.0, -v55
	;; [unrolled: 1-line block ×4, first 2 shown]
	v_lshl_add_u32 v5, v70, 3, 0
	v_lshl_add_u32 v7, v73, 3, 0
	v_lshl_add_u32 v11, v74, 3, 0
	v_fma_f32 v50, v26, 2.0, -v51
	v_lshl_add_u32 v17, v76, 3, 0
	v_lshl_add_u32 v9, v75, 3, 0
	ds_write_b64 v5, v[52:53]
	ds_write_b64 v7, v[54:55]
	;; [unrolled: 1-line block ×5, first 2 shown]
	s_waitcnt vmcnt(1)
	v_sub_f32_e32 v51, v32, v46
	v_sub_f32_e32 v53, v13, v38
	v_add_nc_u32_e32 v77, 0x108, v20
	v_sub_f32_e32 v55, v15, v40
	v_add_nc_u32_e32 v28, 0x134, v20
	v_add_nc_u32_e32 v34, 0x160, v20
	v_fma_f32 v50, v32, 2.0, -v51
	s_waitcnt vmcnt(0)
	v_sub_f32_e32 v57, v36, v44
	v_add_nc_u32_e32 v32, 0x18c, v20
	v_sub_f32_e32 v3, v21, v48
	v_add_nc_u32_e32 v30, 0x1b8, v20
	v_fma_f32 v52, v13, 2.0, -v53
	v_lshl_add_u32 v19, v77, 3, 0
	v_fma_f32 v54, v15, 2.0, -v55
	v_lshl_add_u32 v15, v28, 3, 0
	v_lshl_add_u32 v26, v34, 3, 0
	v_fma_f32 v56, v36, 2.0, -v57
	v_lshl_add_u32 v36, v32, 3, 0
	v_fma_f32 v2, v21, 2.0, -v3
	v_cmp_gt_u32_e64 s0, 22, v20
	v_lshl_add_u32 v24, v30, 3, 0
	ds_write_b64 v19, v[52:53]
	ds_write_b64 v15, v[54:55]
	;; [unrolled: 1-line block ×4, first 2 shown]
	s_and_saveexec_b32 s1, s0
	s_cbranch_execz .LBB0_15
; %bb.14:
	ds_write_b64 v24, v[2:3]
.LBB0_15:
	s_or_b32 exec_lo, exec_lo, s1
	v_lshl_add_u32 v21, v20, 2, 0
	s_waitcnt lgkmcnt(0)
	s_barrier
	buffer_gl0_inv
	ds_read2_b32 v[62:63], v21 offset1:44
	ds_read2_b32 v[60:61], v21 offset0:88 offset1:132
	v_add_nc_u32_e32 v13, 0x400, v21
	v_add_nc_u32_e32 v38, 0x800, v21
	;; [unrolled: 1-line block ×4, first 2 shown]
	ds_read2_b32 v[58:59], v13 offset0:206 offset1:250
	ds_read2_b32 v[56:57], v38 offset0:38 offset1:82
	;; [unrolled: 1-line block ×8, first 2 shown]
	s_and_saveexec_b32 s1, s0
	s_cbranch_execz .LBB0_17
; %bb.16:
	ds_read_b32 v2, v21 offset:1760
	ds_read_b32 v3, v21 offset:3608
.LBB0_17:
	s_or_b32 exec_lo, exec_lo, s1
	v_sub_f32_e32 v43, v4, v43
	v_sub_f32_e32 v13, v1, v49
	;; [unrolled: 1-line block ×6, first 2 shown]
	v_fma_f32 v42, v4, 2.0, -v43
	v_sub_f32_e32 v85, v27, v35
	v_sub_f32_e32 v39, v14, v39
	;; [unrolled: 1-line block ×5, first 2 shown]
	v_fma_f32 v12, v1, 2.0, -v13
	v_fma_f32 v71, v6, 2.0, -v72
	;; [unrolled: 1-line block ×10, first 2 shown]
	s_waitcnt lgkmcnt(0)
	s_barrier
	buffer_gl0_inv
	ds_write_b64 v0, v[42:43]
	ds_write_b64 v5, v[71:72]
	;; [unrolled: 1-line block ×10, first 2 shown]
	s_and_saveexec_b32 s1, s0
	s_cbranch_execz .LBB0_19
; %bb.18:
	ds_write_b64 v24, v[12:13]
.LBB0_19:
	s_or_b32 exec_lo, exec_lo, s1
	v_add_nc_u32_e32 v8, 0x800, v21
	v_add_nc_u32_e32 v10, 0x400, v21
	;; [unrolled: 1-line block ×4, first 2 shown]
	s_waitcnt lgkmcnt(0)
	s_barrier
	buffer_gl0_inv
	ds_read2_b32 v[4:5], v21 offset1:44
	ds_read2_b32 v[18:19], v10 offset0:206 offset1:250
	ds_read2_b32 v[6:7], v21 offset0:88 offset1:132
	;; [unrolled: 1-line block ×9, first 2 shown]
	v_lshlrev_b32_e32 v31, 1, v20
	v_lshlrev_b32_e32 v33, 1, v70
	;; [unrolled: 1-line block ×10, first 2 shown]
	s_and_saveexec_b32 s1, s0
	s_cbranch_execz .LBB0_21
; %bb.20:
	ds_read_b32 v12, v21 offset:1760
	ds_read_b32 v13, v21 offset:3608
.LBB0_21:
	s_or_b32 exec_lo, exec_lo, s1
	v_and_b32_e32 v36, 1, v20
	v_lshlrev_b32_e32 v37, 1, v30
	v_lshlrev_b32_e32 v28, 3, v36
	v_and_or_b32 v30, 0x7c, v31, v36
	v_and_or_b32 v31, 0xfc, v33, v36
	;; [unrolled: 1-line block ×4, first 2 shown]
	global_load_dwordx2 v[28:29], v28, s[8:9]
	v_and_or_b32 v43, 0x1fc, v39, v36
	v_and_or_b32 v44, 0x3fc, v40, v36
	;; [unrolled: 1-line block ×6, first 2 shown]
	v_lshl_add_u32 v38, v30, 2, 0
	v_lshl_add_u32 v39, v31, 2, 0
	;; [unrolled: 1-line block ×10, first 2 shown]
	s_waitcnt vmcnt(0) lgkmcnt(0)
	s_barrier
	buffer_gl0_inv
	v_mul_f32_e32 v30, v18, v29
	v_mul_f32_e32 v31, v19, v29
	;; [unrolled: 1-line block ×11, first 2 shown]
	v_fma_f32 v30, v58, v28, -v30
	v_fma_f32 v31, v59, v28, -v31
	;; [unrolled: 1-line block ×11, first 2 shown]
	v_sub_f32_e32 v30, v62, v30
	v_sub_f32_e32 v31, v63, v31
	;; [unrolled: 1-line block ×11, first 2 shown]
	v_fma_f32 v62, v62, 2.0, -v30
	v_fma_f32 v63, v63, 2.0, -v31
	;; [unrolled: 1-line block ×10, first 2 shown]
	ds_write2_b32 v38, v62, v30 offset1:2
	ds_write2_b32 v39, v63, v31 offset1:2
	;; [unrolled: 1-line block ×10, first 2 shown]
	s_and_saveexec_b32 s1, s0
	s_cbranch_execz .LBB0_23
; %bb.22:
	v_and_or_b32 v30, 0x3fc, v37, v36
	v_fma_f32 v2, v2, 2.0, -v71
	v_lshl_add_u32 v30, v30, 2, 0
	ds_write2_b32 v30, v2, v71 offset1:2
.LBB0_23:
	s_or_b32 exec_lo, exec_lo, s1
	v_mul_f32_e32 v2, v58, v29
	v_mul_f32_e32 v30, v59, v29
	;; [unrolled: 1-line block ×5, first 2 shown]
	v_fmac_f32_e32 v2, v18, v28
	v_fmac_f32_e32 v30, v19, v28
	;; [unrolled: 1-line block ×5, first 2 shown]
	v_mul_f32_e32 v24, v53, v29
	v_mul_f32_e32 v25, v50, v29
	;; [unrolled: 1-line block ×6, first 2 shown]
	v_fmac_f32_e32 v24, v9, v28
	v_fmac_f32_e32 v25, v10, v28
	v_fmac_f32_e32 v26, v11, v28
	v_fmac_f32_e32 v3, v13, v28
	v_sub_f32_e32 v2, v4, v2
	v_sub_f32_e32 v13, v5, v30
	;; [unrolled: 1-line block ×4, first 2 shown]
	v_add_nc_u32_e32 v48, 0x400, v21
	v_add_nc_u32_e32 v52, 0x800, v21
	v_add_nc_u32_e32 v49, 0xc00, v21
	v_fmac_f32_e32 v18, v27, v28
	v_fmac_f32_e32 v19, v8, v28
	v_sub_f32_e32 v54, v0, v33
	v_fma_f32 v55, v4, 2.0, -v2
	v_fma_f32 v56, v5, 2.0, -v13
	;; [unrolled: 1-line block ×4, first 2 shown]
	v_sub_f32_e32 v59, v15, v24
	v_sub_f32_e32 v60, v16, v25
	;; [unrolled: 1-line block ×3, first 2 shown]
	s_waitcnt lgkmcnt(0)
	s_barrier
	buffer_gl0_inv
	ds_read2_b32 v[6:7], v21 offset1:44
	ds_read2_b32 v[4:5], v48 offset0:8 offset1:52
	ds_read2_b32 v[32:33], v52 offset0:104 offset1:148
	;; [unrolled: 1-line block ×9, first 2 shown]
	ds_read_b32 v50, v21 offset:3520
	v_sub_f32_e32 v18, v1, v18
	v_sub_f32_e32 v19, v14, v19
	;; [unrolled: 1-line block ×3, first 2 shown]
	v_fma_f32 v0, v0, 2.0, -v54
	v_fma_f32 v15, v15, 2.0, -v59
	;; [unrolled: 1-line block ×6, first 2 shown]
	s_waitcnt lgkmcnt(0)
	s_barrier
	buffer_gl0_inv
	ds_write2_b32 v38, v55, v2 offset1:2
	ds_write2_b32 v39, v56, v13 offset1:2
	;; [unrolled: 1-line block ×10, first 2 shown]
	s_and_saveexec_b32 s1, s0
	s_cbranch_execz .LBB0_25
; %bb.24:
	v_and_or_b32 v0, 0x3fc, v37, v36
	v_fma_f32 v1, v12, 2.0, -v72
	v_lshl_add_u32 v0, v0, 2, 0
	ds_write2_b32 v0, v1, v72 offset1:2
.LBB0_25:
	s_or_b32 exec_lo, exec_lo, s1
	v_and_b32_e32 v53, 3, v20
	s_waitcnt lgkmcnt(0)
	s_barrier
	buffer_gl0_inv
	v_lshrrev_b32_e32 v54, 2, v20
	v_lshlrev_b32_e32 v0, 4, v53
	v_and_b32_e32 v61, 0xff, v20
	v_and_b32_e32 v63, 0xff, v70
	v_lshrrev_b32_e32 v55, 2, v70
	v_lshrrev_b32_e32 v56, 2, v73
	global_load_dwordx4 v[0:3], v0, s[8:9] offset:16
	v_lshrrev_b32_e32 v57, 2, v74
	v_lshrrev_b32_e32 v58, 2, v75
	;; [unrolled: 1-line block ×4, first 2 shown]
	v_and_b32_e32 v64, 0xff, v73
	v_mul_u32_u24_e32 v54, 12, v54
	v_mul_lo_u16 v61, 0xab, v61
	v_mul_lo_u16 v63, 0xab, v63
	v_mul_u32_u24_e32 v55, 12, v55
	v_mul_u32_u24_e32 v56, 12, v56
	;; [unrolled: 1-line block ×6, first 2 shown]
	v_mul_lo_u16 v64, 0xab, v64
	v_lshrrev_b16 v61, 11, v61
	v_or_b32_e32 v54, v54, v53
	v_lshrrev_b16 v63, 11, v63
	ds_read2_b32 v[16:17], v21 offset1:44
	ds_read2_b32 v[12:13], v48 offset0:8 offset1:52
	ds_read2_b32 v[46:47], v52 offset0:104 offset1:148
	;; [unrolled: 1-line block ×9, first 2 shown]
	ds_read_b32 v51, v21 offset:3520
	v_or_b32_e32 v55, v55, v53
	v_or_b32_e32 v56, v56, v53
	;; [unrolled: 1-line block ×6, first 2 shown]
	v_lshrrev_b16 v60, 11, v64
	v_mul_lo_u16 v64, v61, 12
	v_lshl_add_u32 v65, v54, 2, 0
	v_mul_lo_u16 v54, v63, 12
	v_mov_b32_e32 v62, 6
	v_mul_lo_u16 v66, v60, 12
	v_sub_nc_u16 v64, v20, v64
	v_lshl_add_u32 v69, v57, 2, 0
	v_sub_nc_u16 v68, v70, v54
	v_lshl_add_u32 v74, v58, 2, 0
	v_sub_nc_u16 v97, v73, v66
	v_mul_u32_u24_sdwa v54, v64, v62 dst_sel:DWORD dst_unused:UNUSED_PAD src0_sel:BYTE_0 src1_sel:DWORD
	v_lshl_add_u32 v73, v53, 2, 0
	v_mul_u32_u24_sdwa v57, v68, v62 dst_sel:DWORD dst_unused:UNUSED_PAD src0_sel:BYTE_0 src1_sel:DWORD
	v_lshl_add_u32 v55, v55, 2, 0
	v_mul_u32_u24_sdwa v62, v97, v62 dst_sel:DWORD dst_unused:UNUSED_PAD src0_sel:BYTE_0 src1_sel:DWORD
	v_lshlrev_b32_e32 v75, 3, v54
	v_lshl_add_u32 v56, v56, 2, 0
	v_lshlrev_b32_e32 v81, 3, v57
	s_waitcnt vmcnt(0) lgkmcnt(0)
	s_barrier
	buffer_gl0_inv
	v_lshl_add_u32 v59, v59, 2, 0
	v_cmp_gt_u32_e64 s0, 40, v20
	v_mul_f32_e32 v53, v13, v1
	v_mul_f32_e32 v54, v5, v1
	;; [unrolled: 1-line block ×28, first 2 shown]
	v_fma_f32 v32, v32, v2, -v57
	v_fmac_f32_e32 v58, v46, v2
	v_fma_f32 v5, v5, v0, -v53
	v_fmac_f32_e32 v54, v13, v0
	v_fma_f32 v33, v33, v2, -v76
	v_fmac_f32_e32 v77, v47, v2
	v_fma_f32 v28, v28, v0, -v66
	v_fmac_f32_e32 v67, v44, v0
	v_fma_f32 v29, v29, v0, -v78
	v_fmac_f32_e32 v79, v45, v0
	v_fma_f32 v34, v34, v2, -v80
	v_fmac_f32_e32 v82, v42, v2
	v_fma_f32 v30, v30, v0, -v83
	v_fma_f32 v31, v31, v0, -v87
	v_fmac_f32_e32 v84, v40, v0
	v_fmac_f32_e32 v88, v41, v0
	;; [unrolled: 1-line block ×3, first 2 shown]
	v_fma_f32 v13, v24, v0, -v91
	v_fmac_f32_e32 v92, v36, v0
	v_fmac_f32_e32 v94, v39, v2
	v_fma_f32 v24, v25, v0, -v95
	v_fmac_f32_e32 v1, v37, v0
	v_fma_f32 v0, v50, v2, -v96
	v_fma_f32 v35, v35, v2, -v85
	v_fmac_f32_e32 v86, v43, v2
	v_fma_f32 v26, v26, v2, -v89
	v_fma_f32 v27, v27, v2, -v93
	v_fmac_f32_e32 v3, v51, v2
	v_add_f32_e32 v25, v5, v32
	v_add_f32_e32 v38, v54, v58
	;; [unrolled: 1-line block ×5, first 2 shown]
	v_sub_f32_e32 v46, v79, v82
	v_add_f32_e32 v47, v18, v79
	v_add_f32_e32 v50, v79, v82
	v_sub_f32_e32 v78, v88, v90
	v_add_f32_e32 v79, v14, v88
	v_add_f32_e32 v80, v88, v90
	;; [unrolled: 1-line block ×5, first 2 shown]
	v_sub_f32_e32 v36, v54, v58
	v_add_f32_e32 v37, v16, v54
	v_sub_f32_e32 v5, v5, v32
	v_add_f32_e32 v53, v30, v35
	;; [unrolled: 2-line block ×3, first 2 shown]
	v_add_f32_e32 v66, v84, v86
	v_add_f32_e32 v76, v31, v26
	;; [unrolled: 1-line block ×3, first 2 shown]
	v_sub_f32_e32 v85, v92, v94
	v_add_f32_e32 v87, v15, v92
	v_sub_f32_e32 v92, v1, v3
	v_add_f32_e32 v93, v12, v1
	v_add_f32_e32 v1, v1, v3
	v_fma_f32 v6, -0.5, v25, v6
	v_fma_f32 v16, -0.5, v38, v16
	v_add_f32_e32 v39, v7, v28
	v_sub_f32_e32 v41, v67, v77
	v_add_f32_e32 v42, v17, v67
	v_sub_f32_e32 v28, v28, v33
	v_fmac_f32_e32 v7, -0.5, v40
	v_fmac_f32_e32 v17, -0.5, v43
	v_add_f32_e32 v44, v10, v29
	v_sub_f32_e32 v29, v29, v34
	v_add_f32_e32 v67, v8, v31
	v_add_f32_e32 v83, v9, v13
	v_sub_f32_e32 v13, v13, v27
	v_add_f32_e32 v89, v4, v24
	v_fma_f32 v10, -0.5, v45, v10
	v_fma_f32 v18, -0.5, v50, v18
	v_fmac_f32_e32 v15, -0.5, v88
	v_fmac_f32_e32 v4, -0.5, v91
	v_add_f32_e32 v51, v11, v30
	v_sub_f32_e32 v30, v30, v35
	v_sub_f32_e32 v31, v31, v26
	;; [unrolled: 1-line block ×3, first 2 shown]
	v_add_f32_e32 v2, v2, v32
	v_add_f32_e32 v32, v37, v58
	v_fmac_f32_e32 v11, -0.5, v53
	v_fmac_f32_e32 v19, -0.5, v66
	v_fma_f32 v8, -0.5, v76, v8
	v_fma_f32 v14, -0.5, v80, v14
	v_fmac_f32_e32 v9, -0.5, v84
	v_fmac_f32_e32 v12, -0.5, v1
	v_fmamk_f32 v1, v36, 0x3f5db3d7, v6
	v_fmac_f32_e32 v6, 0xbf5db3d7, v36
	v_fmamk_f32 v36, v5, 0xbf5db3d7, v16
	v_fmac_f32_e32 v16, 0x3f5db3d7, v5
	v_add_f32_e32 v33, v39, v33
	v_add_f32_e32 v37, v42, v77
	;; [unrolled: 1-line block ×3, first 2 shown]
	v_fmamk_f32 v3, v41, 0x3f5db3d7, v7
	v_fmamk_f32 v5, v28, 0xbf5db3d7, v17
	v_fmac_f32_e32 v7, 0xbf5db3d7, v41
	v_fmac_f32_e32 v17, 0x3f5db3d7, v28
	v_add_f32_e32 v34, v44, v34
	v_add_f32_e32 v39, v47, v82
	;; [unrolled: 1-line block ×6, first 2 shown]
	v_fmamk_f32 v28, v46, 0x3f5db3d7, v10
	v_fmamk_f32 v41, v29, 0xbf5db3d7, v18
	;; [unrolled: 1-line block ×3, first 2 shown]
	v_fmac_f32_e32 v15, 0x3f5db3d7, v13
	v_fmamk_f32 v13, v92, 0x3f5db3d7, v4
	v_fmac_f32_e32 v4, 0xbf5db3d7, v92
	v_add_f32_e32 v35, v51, v35
	v_add_f32_e32 v40, v57, v86
	;; [unrolled: 1-line block ×3, first 2 shown]
	v_fmac_f32_e32 v10, 0xbf5db3d7, v46
	v_fmac_f32_e32 v18, 0x3f5db3d7, v29
	v_fmamk_f32 v29, v54, 0x3f5db3d7, v11
	v_fmac_f32_e32 v11, 0xbf5db3d7, v54
	v_fmamk_f32 v43, v30, 0xbf5db3d7, v19
	;; [unrolled: 2-line block ×6, first 2 shown]
	v_fmac_f32_e32 v12, 0x3f5db3d7, v24
	ds_write2_b32 v65, v2, v1 offset1:4
	ds_write_b32 v65, v6 offset:32
	ds_write2_b32 v55, v33, v3 offset1:4
	ds_write_b32 v55, v7 offset:32
	;; [unrolled: 2-line block ×7, first 2 shown]
	s_waitcnt lgkmcnt(0)
	s_barrier
	buffer_gl0_inv
	ds_read2_b32 v[2:3], v21 offset1:44
	ds_read2_b32 v[0:1], v21 offset0:88 offset1:132
	ds_read2_b32 v[44:45], v48 offset0:8 offset1:52
	;; [unrolled: 1-line block ×9, first 2 shown]
	ds_read_b32 v24, v21 offset:3520
	s_waitcnt lgkmcnt(0)
	s_barrier
	buffer_gl0_inv
	ds_write2_b32 v65, v32, v36 offset1:4
	ds_write_b32 v65, v16 offset:32
	ds_write2_b32 v55, v37, v5 offset1:4
	ds_write_b32 v55, v17 offset:32
	;; [unrolled: 2-line block ×7, first 2 shown]
	s_waitcnt lgkmcnt(0)
	s_barrier
	buffer_gl0_inv
	global_load_dwordx4 v[25:28], v75, s[8:9] offset:80
	v_lshlrev_b32_e32 v4, 3, v62
	s_clause 0x7
	global_load_dwordx4 v[29:32], v81, s[8:9] offset:80
	global_load_dwordx4 v[33:36], v4, s[8:9] offset:80
	;; [unrolled: 1-line block ×8, first 2 shown]
	v_mov_b32_e32 v4, 0x150
	v_mov_b32_e32 v6, 2
	v_add_nc_u32_e32 v8, 0x600, v21
	v_mul_u32_u24_sdwa v7, v61, v4 dst_sel:DWORD dst_unused:UNUSED_PAD src0_sel:WORD_0 src1_sel:DWORD
	v_mul_u32_u24_sdwa v9, v63, v4 dst_sel:DWORD dst_unused:UNUSED_PAD src0_sel:WORD_0 src1_sel:DWORD
	;; [unrolled: 1-line block ×3, first 2 shown]
	v_lshlrev_b32_sdwa v10, v6, v64 dst_sel:DWORD dst_unused:UNUSED_PAD src0_sel:DWORD src1_sel:BYTE_0
	v_lshlrev_b32_sdwa v13, v6, v68 dst_sel:DWORD dst_unused:UNUSED_PAD src0_sel:DWORD src1_sel:BYTE_0
	;; [unrolled: 1-line block ×3, first 2 shown]
	ds_read2_b32 v[4:5], v21 offset0:88 offset1:132
	ds_read2_b32 v[68:69], v48 offset0:8 offset1:52
	v_add3_u32 v11, 0, v7, v10
	ds_read2_b32 v[97:98], v21 offset0:176 offset1:220
	v_add3_u32 v10, 0, v9, v13
	v_add3_u32 v9, 0, v12, v6
	ds_read2_b32 v[99:100], v48 offset0:96 offset1:140
	ds_read2_b32 v[101:102], v52 offset0:16 offset1:60
	ds_read2_b32 v[103:104], v52 offset0:104 offset1:148
	ds_read2_b32 v[105:106], v49 offset0:24 offset1:68
	ds_read2_b32 v[107:108], v48 offset0:184 offset1:228
	ds_read2_b32 v[109:110], v52 offset0:192 offset1:236
	ds_read_b32 v37, v21 offset:3520
	ds_read2_b32 v[6:7], v21 offset1:44
	s_waitcnt vmcnt(0) lgkmcnt(0)
	s_barrier
	buffer_gl0_inv
	v_mul_f32_e32 v18, v45, v32
	v_mul_f32_e32 v12, v67, v34
	;; [unrolled: 1-line block ×35, first 2 shown]
	v_fma_f32 v65, v1, v25, -v19
	v_fma_f32 v64, v44, v27, -v49
	v_fmac_f32_e32 v56, v68, v27
	v_fmac_f32_e32 v18, v69, v31
	v_fma_f32 v68, v54, v73, -v111
	v_fma_f32 v69, v57, v75, -v74
	v_fmac_f32_e32 v55, v5, v25
	v_fma_f32 v44, v45, v31, -v28
	v_fma_f32 v45, v66, v29, -v32
	;; [unrolled: 1-line block ×4, first 2 shown]
	v_fmac_f32_e32 v59, v100, v38
	v_fma_f32 v67, v50, v40, -v60
	v_fmac_f32_e32 v61, v101, v40
	v_fmac_f32_e32 v62, v104, v73
	;; [unrolled: 1-line block ×3, first 2 shown]
	v_fma_f32 v60, v58, v83, -v82
	v_fma_f32 v58, v95, v81, -v78
	v_mul_f32_e32 v17, v24, v92
	v_fma_f32 v1, v46, v35, -v34
	v_fma_f32 v38, v96, v89, -v88
	;; [unrolled: 1-line block ×3, first 2 shown]
	v_add_f32_e32 v24, v65, v69
	v_add_f32_e32 v28, v64, v68
	v_fmac_f32_e32 v26, v97, v29
	v_fma_f32 v54, v51, v79, -v76
	v_fmac_f32_e32 v39, v102, v79
	v_fma_f32 v57, v93, v77, -v80
	v_fmac_f32_e32 v41, v107, v77
	v_fmac_f32_e32 v43, v106, v83
	;; [unrolled: 1-line block ×3, first 2 shown]
	v_sub_f32_e32 v25, v55, v63
	v_sub_f32_e32 v29, v56, v62
	v_add_f32_e32 v30, v66, v67
	v_sub_f32_e32 v31, v61, v59
	v_add_f32_e32 v32, v45, v60
	v_add_f32_e32 v34, v44, v58
	v_fmac_f32_e32 v12, v98, v33
	v_fmac_f32_e32 v13, v99, v35
	v_fma_f32 v19, v94, v85, -v84
	v_fmac_f32_e32 v14, v108, v85
	v_fma_f32 v27, v53, v87, -v86
	v_fmac_f32_e32 v15, v103, v87
	v_fmac_f32_e32 v16, v110, v89
	v_fmac_f32_e32 v17, v37, v91
	v_add_f32_e32 v46, v5, v40
	v_add_f32_e32 v49, v1, v38
	;; [unrolled: 1-line block ×3, first 2 shown]
	v_sub_f32_e32 v33, v26, v43
	v_sub_f32_e32 v35, v18, v42
	v_add_f32_e32 v36, v57, v54
	v_sub_f32_e32 v37, v39, v41
	v_sub_f32_e32 v74, v28, v24
	;; [unrolled: 1-line block ×4, first 2 shown]
	v_add_f32_e32 v75, v31, v29
	v_sub_f32_e32 v76, v31, v29
	v_sub_f32_e32 v29, v29, v25
	v_add_f32_e32 v77, v34, v32
	v_sub_f32_e32 v47, v12, v17
	v_sub_f32_e32 v50, v13, v16
	v_add_f32_e32 v51, v19, v27
	v_sub_f32_e32 v53, v15, v14
	v_add_f32_e32 v81, v49, v46
	v_add_f32_e32 v30, v30, v73
	v_sub_f32_e32 v78, v34, v32
	v_sub_f32_e32 v34, v36, v34
	v_add_f32_e32 v79, v37, v35
	v_sub_f32_e32 v80, v37, v35
	v_sub_f32_e32 v35, v35, v33
	;; [unrolled: 1-line block ×4, first 2 shown]
	v_add_f32_e32 v25, v75, v25
	v_add_f32_e32 v36, v36, v77
	v_mul_f32_e32 v24, 0x3f4a47b2, v24
	v_mul_f32_e32 v73, 0x3d64c772, v28
	;; [unrolled: 1-line block ×4, first 2 shown]
	v_sub_f32_e32 v82, v49, v46
	v_sub_f32_e32 v46, v46, v51
	;; [unrolled: 1-line block ×3, first 2 shown]
	v_add_f32_e32 v83, v53, v50
	v_sub_f32_e32 v84, v53, v50
	v_sub_f32_e32 v50, v50, v47
	v_add_f32_e32 v51, v51, v81
	v_add_f32_e32 v2, v2, v30
	v_sub_f32_e32 v37, v33, v37
	v_add_f32_e32 v33, v79, v33
	v_mul_f32_e32 v77, 0x3d64c772, v34
	v_mul_f32_e32 v79, 0xbf08b237, v80
	;; [unrolled: 1-line block ×4, first 2 shown]
	v_fmamk_f32 v28, v28, 0x3d64c772, v24
	v_fma_f32 v73, 0x3f3bfb3b, v74, -v73
	v_fma_f32 v24, 0xbf3bfb3b, v74, -v24
	;; [unrolled: 1-line block ×3, first 2 shown]
	v_fmamk_f32 v75, v31, 0x3eae86e6, v75
	v_fma_f32 v31, 0xbeae86e6, v31, -v76
	v_add_f32_e32 v3, v3, v36
	v_sub_f32_e32 v53, v47, v53
	v_add_f32_e32 v47, v83, v47
	v_mul_f32_e32 v46, 0x3f4a47b2, v46
	v_mul_f32_e32 v81, 0x3d64c772, v49
	;; [unrolled: 1-line block ×4, first 2 shown]
	v_add_f32_e32 v29, v0, v51
	v_fmamk_f32 v0, v30, 0xbf955555, v2
	v_fma_f32 v76, 0x3f3bfb3b, v78, -v77
	v_fma_f32 v35, 0x3f5ff5aa, v35, -v79
	v_fmamk_f32 v77, v37, 0x3eae86e6, v79
	v_fma_f32 v37, 0xbeae86e6, v37, -v80
	v_fmamk_f32 v34, v34, 0x3d64c772, v32
	v_fmac_f32_e32 v75, 0x3ee1c552, v25
	v_fmac_f32_e32 v74, 0x3ee1c552, v25
	;; [unrolled: 1-line block ×3, first 2 shown]
	v_fmamk_f32 v25, v36, 0xbf955555, v3
	v_fma_f32 v32, 0xbf3bfb3b, v78, -v32
	v_fmamk_f32 v49, v49, 0x3d64c772, v46
	v_fma_f32 v78, 0x3f3bfb3b, v82, -v81
	v_fma_f32 v46, 0xbf3bfb3b, v82, -v46
	;; [unrolled: 1-line block ×3, first 2 shown]
	v_fmamk_f32 v79, v53, 0x3eae86e6, v83
	v_fma_f32 v53, 0xbeae86e6, v53, -v84
	v_fmamk_f32 v30, v51, 0xbf955555, v29
	v_add_f32_e32 v28, v28, v0
	v_fmac_f32_e32 v77, 0x3ee1c552, v33
	v_fmac_f32_e32 v35, 0x3ee1c552, v33
	;; [unrolled: 1-line block ×3, first 2 shown]
	v_add_f32_e32 v33, v73, v0
	v_add_f32_e32 v0, v24, v0
	;; [unrolled: 1-line block ×3, first 2 shown]
	v_fmac_f32_e32 v79, 0x3ee1c552, v47
	v_fmac_f32_e32 v50, 0x3ee1c552, v47
	v_fmac_f32_e32 v53, 0x3ee1c552, v47
	v_add_f32_e32 v24, v76, v25
	v_add_f32_e32 v25, v32, v25
	;; [unrolled: 1-line block ×7, first 2 shown]
	v_sub_f32_e32 v51, v33, v74
	v_add_f32_e32 v73, v74, v33
	v_sub_f32_e32 v0, v0, v31
	v_sub_f32_e32 v74, v28, v75
	v_add_f32_e32 v75, v77, v34
	v_add_f32_e32 v76, v37, v25
	v_sub_f32_e32 v78, v24, v35
	v_add_f32_e32 v24, v35, v24
	v_sub_f32_e32 v25, v25, v37
	v_sub_f32_e32 v28, v34, v77
	v_add_f32_e32 v34, v79, v36
	v_add_f32_e32 v35, v53, v30
	v_sub_f32_e32 v32, v47, v50
	v_add_f32_e32 v33, v50, v47
	v_sub_f32_e32 v30, v30, v53
	v_sub_f32_e32 v31, v36, v79
	ds_write2_b32 v11, v2, v46 offset1:12
	ds_write2_b32 v11, v49, v51 offset0:24 offset1:36
	ds_write2_b32 v11, v73, v0 offset0:48 offset1:60
	ds_write_b32 v11, v74 offset:288
	ds_write2_b32 v10, v3, v75 offset1:12
	ds_write2_b32 v10, v76, v78 offset0:24 offset1:36
	ds_write2_b32 v10, v24, v25 offset0:48 offset1:60
	ds_write_b32 v10, v28 offset:288
	;; [unrolled: 4-line block ×3, first 2 shown]
	s_waitcnt lgkmcnt(0)
	s_barrier
	buffer_gl0_inv
	ds_read2_b32 v[36:37], v21 offset1:84
	ds_read2_b32 v[50:51], v21 offset0:168 offset1:252
	ds_read2_b32 v[46:47], v48 offset0:80 offset1:164
	;; [unrolled: 1-line block ×4, first 2 shown]
	ds_read_b32 v73, v21 offset:3360
	s_and_saveexec_b32 s1, s0
	s_cbranch_execz .LBB0_27
; %bb.26:
	v_add_nc_u32_e32 v0, 0x200, v21
	v_add_nc_u32_e32 v2, 0x400, v21
	;; [unrolled: 1-line block ×4, first 2 shown]
	ds_read2_b32 v[24:25], v21 offset0:44 offset1:128
	ds_read2_b32 v[28:29], v0 offset0:84 offset1:168
	;; [unrolled: 1-line block ×5, first 2 shown]
	ds_read_b32 v71, v21 offset:3536
.LBB0_27:
	s_or_b32 exec_lo, exec_lo, s1
	v_add_f32_e32 v26, v26, v43
	v_add_f32_e32 v18, v18, v42
	;; [unrolled: 1-line block ×5, first 2 shown]
	v_sub_f32_e32 v41, v44, v58
	v_sub_f32_e32 v43, v54, v57
	v_add_f32_e32 v44, v18, v26
	v_add_f32_e32 v55, v59, v61
	v_sub_f32_e32 v56, v64, v68
	v_sub_f32_e32 v59, v67, v66
	v_add_f32_e32 v61, v2, v0
	v_sub_f32_e32 v42, v45, v60
	v_sub_f32_e32 v45, v18, v26
	;; [unrolled: 1-line block ×4, first 2 shown]
	v_add_f32_e32 v54, v43, v41
	v_add_f32_e32 v39, v39, v44
	;; [unrolled: 1-line block ×4, first 2 shown]
	v_sub_f32_e32 v3, v65, v69
	v_sub_f32_e32 v62, v2, v0
	;; [unrolled: 1-line block ×4, first 2 shown]
	v_add_f32_e32 v63, v59, v56
	v_add_f32_e32 v55, v55, v61
	v_sub_f32_e32 v61, v59, v56
	v_sub_f32_e32 v44, v43, v41
	;; [unrolled: 1-line block ×4, first 2 shown]
	v_add_f32_e32 v42, v54, v42
	v_add_f32_e32 v7, v7, v39
	v_mul_f32_e32 v26, 0x3f4a47b2, v26
	v_mul_f32_e32 v54, 0x3d64c772, v18
	v_sub_f32_e32 v5, v5, v40
	v_add_f32_e32 v14, v14, v15
	v_sub_f32_e32 v1, v1, v38
	v_sub_f32_e32 v15, v27, v19
	v_add_f32_e32 v16, v13, v12
	v_sub_f32_e32 v56, v56, v3
	v_sub_f32_e32 v59, v3, v59
	v_add_f32_e32 v3, v63, v3
	v_add_f32_e32 v6, v6, v55
	v_mul_f32_e32 v0, 0x3f4a47b2, v0
	v_mul_f32_e32 v63, 0x3d64c772, v2
	;; [unrolled: 1-line block ×4, first 2 shown]
	v_fmamk_f32 v39, v39, 0xbf955555, v7
	v_fmamk_f32 v18, v18, 0x3d64c772, v26
	v_fma_f32 v54, 0x3f3bfb3b, v45, -v54
	v_fma_f32 v26, 0xbf3bfb3b, v45, -v26
	v_sub_f32_e32 v17, v13, v12
	v_sub_f32_e32 v12, v12, v14
	;; [unrolled: 1-line block ×3, first 2 shown]
	v_add_f32_e32 v19, v15, v1
	v_add_f32_e32 v14, v14, v16
	v_sub_f32_e32 v16, v15, v1
	v_sub_f32_e32 v1, v1, v5
	v_mul_f32_e32 v64, 0x3f5ff5aa, v56
	v_fmamk_f32 v55, v55, 0xbf955555, v6
	v_fmamk_f32 v2, v2, 0x3d64c772, v0
	v_fma_f32 v63, 0x3f3bfb3b, v62, -v63
	v_fma_f32 v0, 0xbf3bfb3b, v62, -v0
	v_fmamk_f32 v62, v59, 0x3eae86e6, v61
	v_mul_f32_e32 v57, 0x3f5ff5aa, v41
	v_fmamk_f32 v45, v43, 0x3eae86e6, v44
	v_fma_f32 v41, 0x3f5ff5aa, v41, -v44
	v_add_f32_e32 v18, v18, v39
	v_add_f32_e32 v44, v54, v39
	;; [unrolled: 1-line block ×3, first 2 shown]
	v_sub_f32_e32 v15, v5, v15
	v_add_f32_e32 v5, v19, v5
	v_add_f32_e32 v39, v4, v14
	v_mul_f32_e32 v4, 0x3f4a47b2, v12
	v_mul_f32_e32 v12, 0x3d64c772, v13
	;; [unrolled: 1-line block ×4, first 2 shown]
	v_fma_f32 v56, 0x3f5ff5aa, v56, -v61
	v_fma_f32 v59, 0xbeae86e6, v59, -v64
	v_add_f32_e32 v2, v2, v55
	v_fmac_f32_e32 v62, 0x3ee1c552, v3
	v_fma_f32 v43, 0xbeae86e6, v43, -v57
	v_fmamk_f32 v14, v14, 0xbf955555, v39
	v_fmamk_f32 v13, v13, 0x3d64c772, v4
	v_fma_f32 v12, 0x3f3bfb3b, v17, -v12
	v_fma_f32 v4, 0xbf3bfb3b, v17, -v4
	v_fmamk_f32 v17, v15, 0x3eae86e6, v16
	v_fma_f32 v1, 0x3f5ff5aa, v1, -v16
	v_fma_f32 v15, 0xbeae86e6, v15, -v19
	v_add_f32_e32 v61, v63, v55
	v_add_f32_e32 v0, v0, v55
	v_fmac_f32_e32 v59, 0x3ee1c552, v3
	v_fmac_f32_e32 v56, 0x3ee1c552, v3
	v_fmac_f32_e32 v45, 0x3ee1c552, v42
	v_sub_f32_e32 v3, v2, v62
	v_fmac_f32_e32 v43, 0x3ee1c552, v42
	v_fmac_f32_e32 v41, 0x3ee1c552, v42
	v_add_f32_e32 v13, v13, v14
	v_add_f32_e32 v12, v12, v14
	v_add_f32_e32 v4, v4, v14
	v_fmac_f32_e32 v17, 0x3ee1c552, v5
	v_fmac_f32_e32 v15, 0x3ee1c552, v5
	;; [unrolled: 1-line block ×3, first 2 shown]
	v_sub_f32_e32 v55, v0, v59
	v_add_f32_e32 v63, v56, v61
	v_sub_f32_e32 v56, v61, v56
	v_add_f32_e32 v0, v59, v0
	v_add_f32_e32 v2, v62, v2
	v_sub_f32_e32 v57, v18, v45
	v_sub_f32_e32 v58, v54, v43
	v_add_f32_e32 v59, v41, v44
	v_sub_f32_e32 v26, v44, v41
	v_add_f32_e32 v27, v43, v54
	v_add_f32_e32 v38, v45, v18
	v_sub_f32_e32 v44, v13, v17
	v_sub_f32_e32 v45, v4, v15
	v_add_f32_e32 v42, v1, v12
	v_sub_f32_e32 v43, v12, v1
	v_add_f32_e32 v40, v15, v4
	v_add_f32_e32 v41, v17, v13
	s_waitcnt lgkmcnt(0)
	s_barrier
	buffer_gl0_inv
	ds_write2_b32 v11, v6, v3 offset1:12
	ds_write2_b32 v11, v55, v63 offset0:24 offset1:36
	ds_write2_b32 v11, v56, v0 offset0:48 offset1:60
	ds_write_b32 v11, v2 offset:288
	ds_write2_b32 v10, v7, v57 offset1:12
	ds_write2_b32 v10, v58, v59 offset0:24 offset1:36
	ds_write2_b32 v10, v26, v27 offset0:48 offset1:60
	ds_write_b32 v10, v38 offset:288
	;; [unrolled: 4-line block ×3, first 2 shown]
	v_add_nc_u32_e32 v0, 0x400, v21
	v_add_nc_u32_e32 v1, 0x800, v21
	s_waitcnt lgkmcnt(0)
	s_barrier
	buffer_gl0_inv
	ds_read2_b32 v[60:61], v21 offset1:84
	ds_read2_b32 v[66:67], v21 offset0:168 offset1:252
	ds_read2_b32 v[62:63], v0 offset0:80 offset1:164
	;; [unrolled: 1-line block ×4, first 2 shown]
	ds_read_b32 v74, v21 offset:3360
	s_and_saveexec_b32 s1, s0
	s_cbranch_execz .LBB0_29
; %bb.28:
	v_add_nc_u32_e32 v2, 0x200, v21
	v_add_nc_u32_e32 v3, 0xa00, v21
	ds_read2_b32 v[26:27], v21 offset0:44 offset1:128
	ds_read2_b32 v[44:45], v0 offset0:124 offset1:208
	;; [unrolled: 1-line block ×5, first 2 shown]
	ds_read_b32 v72, v21 offset:3536
.LBB0_29:
	s_or_b32 exec_lo, exec_lo, s1
	s_and_saveexec_b32 s1, vcc_lo
	s_cbranch_execz .LBB0_32
; %bb.30:
	v_mul_u32_u24_e32 v0, 10, v20
	v_mov_b32_e32 v21, 0
	v_add_co_u32 v22, vcc_lo, s2, v22
	v_add_co_ci_u32_e32 v23, vcc_lo, s3, v23, vcc_lo
	v_lshlrev_b32_e32 v0, 3, v0
	v_lshlrev_b64 v[54:55], 3, v[20:21]
	s_clause 0x4
	global_load_dwordx4 v[4:7], v0, s[8:9] offset:720
	global_load_dwordx4 v[16:19], v0, s[8:9] offset:656
	;; [unrolled: 1-line block ×5, first 2 shown]
	v_add_co_u32 v22, vcc_lo, v22, v54
	v_add_co_ci_u32_e32 v23, vcc_lo, v23, v55, vcc_lo
	v_add_co_u32 v54, vcc_lo, 0x800, v22
	v_add_co_ci_u32_e32 v55, vcc_lo, 0, v23, vcc_lo
	;; [unrolled: 2-line block ×4, first 2 shown]
	s_waitcnt vmcnt(4) lgkmcnt(0)
	v_mul_f32_e32 v75, v74, v6
	s_waitcnt vmcnt(3)
	v_mul_f32_e32 v76, v61, v16
	v_mul_f32_e32 v61, v61, v17
	;; [unrolled: 1-line block ×7, first 2 shown]
	s_waitcnt vmcnt(2)
	v_mul_f32_e32 v79, v68, v10
	s_waitcnt vmcnt(1)
	v_mul_f32_e32 v80, v67, v12
	v_mul_f32_e32 v81, v65, v8
	;; [unrolled: 1-line block ×3, first 2 shown]
	s_waitcnt vmcnt(0)
	v_mul_f32_e32 v83, v64, v2
	v_mul_f32_e32 v84, v63, v0
	;; [unrolled: 1-line block ×3, first 2 shown]
	v_fmac_f32_e32 v75, v73, v7
	v_fmac_f32_e32 v76, v37, v17
	v_fma_f32 v7, v37, v16, -v61
	v_fma_f32 v37, v73, v6, -v74
	v_mul_f32_e32 v67, v67, v13
	v_mul_f32_e32 v68, v68, v11
	;; [unrolled: 1-line block ×5, first 2 shown]
	v_fmac_f32_e32 v77, v53, v5
	v_fmac_f32_e32 v78, v50, v19
	v_fma_f32 v5, v50, v18, -v66
	v_fma_f32 v50, v53, v4, -v69
	v_fmac_f32_e32 v79, v52, v11
	v_fmac_f32_e32 v80, v51, v13
	v_fmac_f32_e32 v81, v49, v9
	v_fmac_f32_e32 v82, v46, v15
	v_fmac_f32_e32 v83, v48, v3
	v_fmac_f32_e32 v84, v47, v1
	v_fma_f32 v1, v48, v2, -v64
	v_add_f32_e32 v2, v75, v76
	v_sub_f32_e32 v3, v7, v37
	v_add_f32_e32 v17, v37, v7
	v_sub_f32_e32 v18, v76, v75
	v_add_f32_e32 v19, v60, v76
	v_add_f32_e32 v7, v36, v7
	v_fma_f32 v4, v51, v12, -v67
	v_fma_f32 v16, v52, v10, -v68
	;; [unrolled: 1-line block ×5, first 2 shown]
	v_add_f32_e32 v9, v77, v78
	v_sub_f32_e32 v10, v5, v50
	v_add_f32_e32 v11, v79, v80
	v_add_f32_e32 v13, v81, v82
	v_add_f32_e32 v15, v83, v84
	v_sub_f32_e32 v47, v78, v77
	v_add_f32_e32 v48, v50, v5
	v_sub_f32_e32 v49, v80, v79
	v_sub_f32_e32 v52, v82, v81
	v_sub_f32_e32 v61, v84, v83
	v_mul_f32_e32 v63, 0x3f575c64, v2
	v_mul_f32_e32 v67, 0xbf0a6770, v18
	;; [unrolled: 1-line block ×10, first 2 shown]
	v_add_f32_e32 v19, v19, v78
	v_add_f32_e32 v5, v7, v5
	v_sub_f32_e32 v12, v4, v16
	v_sub_f32_e32 v14, v6, v8
	;; [unrolled: 1-line block ×3, first 2 shown]
	v_add_f32_e32 v51, v16, v4
	v_add_f32_e32 v53, v8, v6
	;; [unrolled: 1-line block ×3, first 2 shown]
	v_mul_f32_e32 v64, 0x3ed4b147, v9
	v_mul_f32_e32 v65, 0xbe11bafb, v11
	;; [unrolled: 1-line block ×40, first 2 shown]
	v_fmamk_f32 v113, v3, 0x3f0a6770, v63
	v_fmamk_f32 v117, v17, 0x3f575c64, v67
	;; [unrolled: 1-line block ×8, first 2 shown]
	v_fmac_f32_e32 v2, 0xbe903f40, v3
	v_fmac_f32_e32 v90, 0xbf4178ce, v3
	;; [unrolled: 1-line block ×5, first 2 shown]
	v_fmamk_f32 v130, v17, 0xbf27a4f4, v94
	v_fmamk_f32 v131, v17, 0xbf75a155, v18
	v_fma_f32 v18, 0xbf75a155, v17, -v18
	v_fma_f32 v76, 0x3ed4b147, v17, -v76
	v_add_f32_e32 v19, v19, v80
	v_add_f32_e32 v4, v5, v4
	v_fmamk_f32 v114, v10, 0x3f68dda4, v64
	v_fmamk_f32 v115, v12, 0x3f7d64f0, v65
	;; [unrolled: 1-line block ×10, first 2 shown]
	v_fma_f32 v94, 0xbf27a4f4, v17, -v94
	v_fma_f32 v89, 0xbe11bafb, v17, -v89
	;; [unrolled: 1-line block ×3, first 2 shown]
	v_fmamk_f32 v67, v12, 0x3f0a6770, v92
	v_fmamk_f32 v132, v14, 0x3e903f40, v93
	;; [unrolled: 1-line block ×3, first 2 shown]
	v_fmac_f32_e32 v9, 0x3f0a6770, v10
	v_fmac_f32_e32 v91, 0x3f7d64f0, v10
	v_fmac_f32_e32 v86, 0x3e903f40, v10
	v_fmac_f32_e32 v69, 0xbf4178ce, v10
	v_fmac_f32_e32 v64, 0xbf68dda4, v10
	v_fmamk_f32 v10, v12, 0x3f4178ce, v11
	v_fmac_f32_e32 v11, 0xbf4178ce, v12
	v_fmac_f32_e32 v92, 0xbf0a6770, v12
	v_fmac_f32_e32 v87, 0x3f68dda4, v12
	v_fmac_f32_e32 v73, 0x3e903f40, v12
	v_fmac_f32_e32 v65, 0xbf7d64f0, v12
	v_fmamk_f32 v12, v14, 0xbf68dda4, v13
	;; [unrolled: 6-line block ×3, first 2 shown]
	v_fmac_f32_e32 v15, 0xbf7d64f0, v46
	v_fmamk_f32 v134, v46, 0xbf68dda4, v98
	v_fmac_f32_e32 v98, 0x3f68dda4, v46
	v_fmamk_f32 v135, v46, 0x3f4178ce, v97
	;; [unrolled: 2-line block ×5, first 2 shown]
	v_fma_f32 v7, 0x3f575c64, v48, -v7
	v_fmamk_f32 v138, v48, 0xbe11bafb, v99
	v_fma_f32 v99, 0xbe11bafb, v48, -v99
	v_fmamk_f32 v139, v48, 0xbf75a155, v47
	;; [unrolled: 2-line block ×19, first 2 shown]
	v_fma_f32 v62, 0xbf75a155, v62, -v109
	v_add_f32_e32 v109, v60, v113
	v_add_f32_e32 v113, v60, v118
	;; [unrolled: 1-line block ×111, first 2 shown]
	global_store_dwordx2 v[22:23], v[18:19], off offset:672
	global_store_dwordx2 v[22:23], v[16:17], off offset:1344
	;; [unrolled: 1-line block ×5, first 2 shown]
	v_add_f32_e32 v11, v75, v36
	v_add_f32_e32 v10, v37, v46
	;; [unrolled: 1-line block ×3, first 2 shown]
	global_store_dwordx2 v[54:55], v[8:9], off offset:1984
	global_store_dwordx2 v[58:59], v[6:7], off offset:608
	;; [unrolled: 1-line block ×4, first 2 shown]
	global_store_dwordx2 v[22:23], v[10:11], off
	global_store_dwordx2 v[56:57], v[0:1], off offset:576
	s_and_b32 exec_lo, exec_lo, s0
	s_cbranch_execz .LBB0_32
; %bb.31:
	v_subrev_nc_u32_e32 v0, 40, v20
	v_cndmask_b32_e64 v0, v0, v70, s0
	v_mul_i32_i24_e32 v20, 10, v0
	v_lshlrev_b64 v[0:1], 3, v[20:21]
	v_add_co_u32 v0, vcc_lo, s8, v0
	v_add_co_ci_u32_e32 v1, vcc_lo, s9, v1, vcc_lo
	s_clause 0x4
	global_load_dwordx4 v[2:5], v[0:1], off offset:656
	global_load_dwordx4 v[6:9], v[0:1], off offset:672
	;; [unrolled: 1-line block ×5, first 2 shown]
	s_waitcnt vmcnt(4)
	v_mul_f32_e32 v36, v27, v3
	v_mul_f32_e32 v37, v25, v3
	v_mul_f32_e32 v46, v38, v5
	v_mul_f32_e32 v47, v28, v5
	s_waitcnt vmcnt(3)
	v_mul_f32_e32 v48, v39, v7
	v_mul_f32_e32 v49, v29, v7
	v_mul_f32_e32 v50, v44, v9
	v_mul_f32_e32 v51, v34, v9
	s_waitcnt vmcnt(2)
	v_mul_f32_e32 v52, v45, v11
	v_mul_f32_e32 v9, v35, v11
	v_mul_f32_e32 v11, v42, v13
	v_mul_f32_e32 v7, v32, v13
	s_waitcnt vmcnt(1)
	v_mul_f32_e32 v13, v43, v15
	v_mul_f32_e32 v5, v33, v15
	v_mul_f32_e32 v15, v40, v17
	v_mul_f32_e32 v3, v30, v17
	s_waitcnt vmcnt(0)
	v_mul_f32_e32 v17, v41, v19
	v_mul_f32_e32 v1, v31, v19
	v_mul_f32_e32 v19, v72, v21
	v_mul_f32_e32 v0, v71, v21
	v_fma_f32 v21, v25, v2, -v36
	v_fmac_f32_e32 v37, v27, v2
	v_fma_f32 v25, v28, v4, -v46
	v_fmac_f32_e32 v47, v38, v4
	v_fma_f32 v27, v29, v6, -v48
	v_fma_f32 v29, v35, v10, -v52
	v_fmac_f32_e32 v9, v45, v10
	v_fma_f32 v10, v32, v12, -v11
	v_fmac_f32_e32 v7, v42, v12
	v_add_f32_e32 v11, v24, v21
	v_add_f32_e32 v12, v26, v37
	v_fma_f32 v2, v71, v20, -v19
	v_fmac_f32_e32 v0, v72, v20
	v_fmac_f32_e32 v49, v39, v6
	v_add_f32_e32 v11, v11, v25
	v_add_f32_e32 v12, v12, v47
	v_fma_f32 v28, v34, v8, -v50
	v_fmac_f32_e32 v51, v44, v8
	v_fma_f32 v8, v33, v14, -v13
	v_fmac_f32_e32 v5, v43, v14
	;; [unrolled: 2-line block ×4, first 2 shown]
	v_sub_f32_e32 v15, v21, v2
	v_sub_f32_e32 v16, v37, v0
	v_add_f32_e32 v11, v11, v27
	v_add_f32_e32 v12, v12, v49
	;; [unrolled: 1-line block ×6, first 2 shown]
	v_sub_f32_e32 v19, v25, v4
	v_sub_f32_e32 v20, v47, v1
	;; [unrolled: 1-line block ×8, first 2 shown]
	v_mul_f32_e32 v25, 0xbf0a6770, v16
	v_mul_f32_e32 v41, 0xbf0a6770, v15
	;; [unrolled: 1-line block ×10, first 2 shown]
	v_add_f32_e32 v11, v11, v28
	v_add_f32_e32 v12, v12, v51
	;; [unrolled: 1-line block ×8, first 2 shown]
	v_mul_f32_e32 v48, 0xbf68dda4, v20
	v_mul_f32_e32 v50, 0xbf68dda4, v19
	;; [unrolled: 1-line block ×40, first 2 shown]
	v_fma_f32 v27, 0x3f575c64, v13, -v25
	v_fmamk_f32 v49, v14, 0x3f575c64, v41
	v_fmac_f32_e32 v25, 0x3f575c64, v13
	v_fma_f32 v41, 0x3f575c64, v14, -v41
	v_fma_f32 v88, 0x3ed4b147, v13, -v42
	v_fmamk_f32 v89, v14, 0x3ed4b147, v43
	v_fmac_f32_e32 v42, 0x3ed4b147, v13
	v_fma_f32 v43, 0x3ed4b147, v14, -v43
	;; [unrolled: 4-line block ×4, first 2 shown]
	v_fma_f32 v94, 0xbf75a155, v13, -v16
	v_fmac_f32_e32 v16, 0xbf75a155, v13
	v_fma_f32 v13, 0xbf75a155, v14, -v15
	v_fmamk_f32 v95, v14, 0xbf75a155, v15
	v_add_f32_e32 v11, v11, v29
	v_add_f32_e32 v9, v12, v9
	v_fma_f32 v14, 0x3ed4b147, v17, -v48
	v_fmamk_f32 v15, v18, 0x3ed4b147, v50
	v_fmac_f32_e32 v48, 0x3ed4b147, v17
	v_fma_f32 v50, 0x3ed4b147, v18, -v50
	v_fma_f32 v96, 0xbf27a4f4, v17, -v52
	v_fmamk_f32 v97, v18, 0xbf27a4f4, v53
	v_fmac_f32_e32 v52, 0xbf27a4f4, v17
	v_fma_f32 v53, 0xbf27a4f4, v18, -v53
	;; [unrolled: 4-line block ×20, first 2 shown]
	v_add_f32_e32 v27, v24, v27
	v_add_f32_e32 v28, v26, v49
	;; [unrolled: 1-line block ×110, first 2 shown]
	global_store_dwordx2 v[22:23], v[5:6], off offset:1024
	global_store_dwordx2 v[22:23], v[9:10], off offset:1696
	;; [unrolled: 1-line block ×11, first 2 shown]
.LBB0_32:
	s_endpgm
	.section	.rodata,"a",@progbits
	.p2align	6, 0x0
	.amdhsa_kernel fft_rtc_fwd_len924_factors_2_2_3_7_11_wgs_44_tpt_44_halfLds_sp_ip_CI_unitstride_sbrr_dirReg
		.amdhsa_group_segment_fixed_size 0
		.amdhsa_private_segment_fixed_size 0
		.amdhsa_kernarg_size 88
		.amdhsa_user_sgpr_count 6
		.amdhsa_user_sgpr_private_segment_buffer 1
		.amdhsa_user_sgpr_dispatch_ptr 0
		.amdhsa_user_sgpr_queue_ptr 0
		.amdhsa_user_sgpr_kernarg_segment_ptr 1
		.amdhsa_user_sgpr_dispatch_id 0
		.amdhsa_user_sgpr_flat_scratch_init 0
		.amdhsa_user_sgpr_private_segment_size 0
		.amdhsa_wavefront_size32 1
		.amdhsa_uses_dynamic_stack 0
		.amdhsa_system_sgpr_private_segment_wavefront_offset 0
		.amdhsa_system_sgpr_workgroup_id_x 1
		.amdhsa_system_sgpr_workgroup_id_y 0
		.amdhsa_system_sgpr_workgroup_id_z 0
		.amdhsa_system_sgpr_workgroup_info 0
		.amdhsa_system_vgpr_workitem_id 0
		.amdhsa_next_free_vgpr 152
		.amdhsa_next_free_sgpr 21
		.amdhsa_reserve_vcc 1
		.amdhsa_reserve_flat_scratch 0
		.amdhsa_float_round_mode_32 0
		.amdhsa_float_round_mode_16_64 0
		.amdhsa_float_denorm_mode_32 3
		.amdhsa_float_denorm_mode_16_64 3
		.amdhsa_dx10_clamp 1
		.amdhsa_ieee_mode 1
		.amdhsa_fp16_overflow 0
		.amdhsa_workgroup_processor_mode 1
		.amdhsa_memory_ordered 1
		.amdhsa_forward_progress 0
		.amdhsa_shared_vgpr_count 0
		.amdhsa_exception_fp_ieee_invalid_op 0
		.amdhsa_exception_fp_denorm_src 0
		.amdhsa_exception_fp_ieee_div_zero 0
		.amdhsa_exception_fp_ieee_overflow 0
		.amdhsa_exception_fp_ieee_underflow 0
		.amdhsa_exception_fp_ieee_inexact 0
		.amdhsa_exception_int_div_zero 0
	.end_amdhsa_kernel
	.text
.Lfunc_end0:
	.size	fft_rtc_fwd_len924_factors_2_2_3_7_11_wgs_44_tpt_44_halfLds_sp_ip_CI_unitstride_sbrr_dirReg, .Lfunc_end0-fft_rtc_fwd_len924_factors_2_2_3_7_11_wgs_44_tpt_44_halfLds_sp_ip_CI_unitstride_sbrr_dirReg
                                        ; -- End function
	.section	.AMDGPU.csdata,"",@progbits
; Kernel info:
; codeLenInByte = 12444
; NumSgprs: 23
; NumVgprs: 152
; ScratchSize: 0
; MemoryBound: 0
; FloatMode: 240
; IeeeMode: 1
; LDSByteSize: 0 bytes/workgroup (compile time only)
; SGPRBlocks: 2
; VGPRBlocks: 18
; NumSGPRsForWavesPerEU: 23
; NumVGPRsForWavesPerEU: 152
; Occupancy: 6
; WaveLimiterHint : 1
; COMPUTE_PGM_RSRC2:SCRATCH_EN: 0
; COMPUTE_PGM_RSRC2:USER_SGPR: 6
; COMPUTE_PGM_RSRC2:TRAP_HANDLER: 0
; COMPUTE_PGM_RSRC2:TGID_X_EN: 1
; COMPUTE_PGM_RSRC2:TGID_Y_EN: 0
; COMPUTE_PGM_RSRC2:TGID_Z_EN: 0
; COMPUTE_PGM_RSRC2:TIDIG_COMP_CNT: 0
	.text
	.p2alignl 6, 3214868480
	.fill 48, 4, 3214868480
	.type	__hip_cuid_2ade2cdbf0476441,@object ; @__hip_cuid_2ade2cdbf0476441
	.section	.bss,"aw",@nobits
	.globl	__hip_cuid_2ade2cdbf0476441
__hip_cuid_2ade2cdbf0476441:
	.byte	0                               ; 0x0
	.size	__hip_cuid_2ade2cdbf0476441, 1

	.ident	"AMD clang version 19.0.0git (https://github.com/RadeonOpenCompute/llvm-project roc-6.4.0 25133 c7fe45cf4b819c5991fe208aaa96edf142730f1d)"
	.section	".note.GNU-stack","",@progbits
	.addrsig
	.addrsig_sym __hip_cuid_2ade2cdbf0476441
	.amdgpu_metadata
---
amdhsa.kernels:
  - .args:
      - .actual_access:  read_only
        .address_space:  global
        .offset:         0
        .size:           8
        .value_kind:     global_buffer
      - .offset:         8
        .size:           8
        .value_kind:     by_value
      - .actual_access:  read_only
        .address_space:  global
        .offset:         16
        .size:           8
        .value_kind:     global_buffer
      - .actual_access:  read_only
        .address_space:  global
        .offset:         24
        .size:           8
        .value_kind:     global_buffer
      - .offset:         32
        .size:           8
        .value_kind:     by_value
      - .actual_access:  read_only
        .address_space:  global
        .offset:         40
        .size:           8
        .value_kind:     global_buffer
      - .actual_access:  read_only
        .address_space:  global
        .offset:         48
        .size:           8
        .value_kind:     global_buffer
      - .offset:         56
        .size:           4
        .value_kind:     by_value
      - .actual_access:  read_only
        .address_space:  global
        .offset:         64
        .size:           8
        .value_kind:     global_buffer
      - .actual_access:  read_only
        .address_space:  global
        .offset:         72
        .size:           8
        .value_kind:     global_buffer
      - .address_space:  global
        .offset:         80
        .size:           8
        .value_kind:     global_buffer
    .group_segment_fixed_size: 0
    .kernarg_segment_align: 8
    .kernarg_segment_size: 88
    .language:       OpenCL C
    .language_version:
      - 2
      - 0
    .max_flat_workgroup_size: 44
    .name:           fft_rtc_fwd_len924_factors_2_2_3_7_11_wgs_44_tpt_44_halfLds_sp_ip_CI_unitstride_sbrr_dirReg
    .private_segment_fixed_size: 0
    .sgpr_count:     23
    .sgpr_spill_count: 0
    .symbol:         fft_rtc_fwd_len924_factors_2_2_3_7_11_wgs_44_tpt_44_halfLds_sp_ip_CI_unitstride_sbrr_dirReg.kd
    .uniform_work_group_size: 1
    .uses_dynamic_stack: false
    .vgpr_count:     152
    .vgpr_spill_count: 0
    .wavefront_size: 32
    .workgroup_processor_mode: 1
amdhsa.target:   amdgcn-amd-amdhsa--gfx1030
amdhsa.version:
  - 1
  - 2
...

	.end_amdgpu_metadata
